;; amdgpu-corpus repo=zjin-lcf/HeCBench kind=compiled arch=gfx1250 opt=O3
	.amdgcn_target "amdgcn-amd-amdhsa--gfx1250"
	.amdhsa_code_object_version 6
	.section	.text._Z9AoSKernelILi4096EEvPK9AppleTreePi,"axG",@progbits,_Z9AoSKernelILi4096EEvPK9AppleTreePi,comdat
	.protected	_Z9AoSKernelILi4096EEvPK9AppleTreePi ; -- Begin function _Z9AoSKernelILi4096EEvPK9AppleTreePi
	.globl	_Z9AoSKernelILi4096EEvPK9AppleTreePi
	.p2align	8
	.type	_Z9AoSKernelILi4096EEvPK9AppleTreePi,@function
_Z9AoSKernelILi4096EEvPK9AppleTreePi:   ; @_Z9AoSKernelILi4096EEvPK9AppleTreePi
; %bb.0:
	s_load_b32 s2, s[0:1], 0x1c
	s_bfe_u32 s3, ttmp6, 0x4000c
	s_and_b32 s4, ttmp6, 15
	s_add_co_i32 s3, s3, 1
	s_getreg_b32 s5, hwreg(HW_REG_IB_STS2, 6, 4)
	s_mul_i32 s3, ttmp9, s3
	v_mov_b32_e32 v1, 0
	s_add_co_i32 s4, s4, s3
	s_delay_alu instid0(VALU_DEP_1)
	v_dual_mov_b32 v4, v1 :: v_dual_mov_b32 v5, v1
	s_wait_kmcnt 0x0
	s_and_b32 s6, s2, 0xffff
	s_cmp_eq_u32 s5, 0
	s_load_b128 s[0:3], s[0:1], 0x0
	s_cselect_b32 s4, ttmp9, s4
	s_delay_alu instid0(SALU_CYCLE_1) | instskip(NEXT) | instid1(VALU_DEP_1)
	v_mad_u32 v0, s4, s6, v0
	v_lshlrev_b64_e32 v[2:3], 14, v[0:1]
	s_wait_kmcnt 0x0
	s_delay_alu instid0(VALU_DEP_1)
	v_add_nc_u64_e32 v[2:3], s[0:1], v[2:3]
	s_mov_b64 s[0:1], 0
.LBB0_1:                                ; =>This Inner Loop Header: Depth=1
	s_delay_alu instid0(VALU_DEP_1) | instid1(SALU_CYCLE_1)
	v_add_nc_u64_e32 v[38:39], s[0:1], v[2:3]
	s_add_nc_u64 s[0:1], s[0:1], 0x80
	s_clause 0x7
	global_load_b128 v[6:9], v[38:39], off
	global_load_b128 v[10:13], v[38:39], off offset:16
	global_load_b128 v[14:17], v[38:39], off offset:32
	;; [unrolled: 1-line block ×7, first 2 shown]
	s_cmp_lg_u32 s0, 0x4000
	s_wait_loadcnt 0x7
	v_add3_u32 v5, v7, v5, v9
	v_add3_u32 v4, v6, v4, v8
	s_wait_loadcnt 0x6
	s_delay_alu instid0(VALU_DEP_2) | instskip(NEXT) | instid1(VALU_DEP_2)
	v_add3_u32 v5, v11, v5, v13
	v_add3_u32 v4, v10, v4, v12
	s_wait_loadcnt 0x5
	s_delay_alu instid0(VALU_DEP_2) | instskip(NEXT) | instid1(VALU_DEP_2)
	;; [unrolled: 4-line block ×7, first 2 shown]
	v_add3_u32 v5, v35, v5, v37
	v_add3_u32 v4, v34, v4, v36
	s_cbranch_scc1 .LBB0_1
; %bb.2:
	s_delay_alu instid0(VALU_DEP_1)
	v_add_nc_u32_e32 v2, v4, v5
	v_lshl_add_u64 v[0:1], v[0:1], 2, s[2:3]
	global_store_b32 v[0:1], v2, off
	s_endpgm
	.section	.rodata,"a",@progbits
	.p2align	6, 0x0
	.amdhsa_kernel _Z9AoSKernelILi4096EEvPK9AppleTreePi
		.amdhsa_group_segment_fixed_size 0
		.amdhsa_private_segment_fixed_size 0
		.amdhsa_kernarg_size 272
		.amdhsa_user_sgpr_count 2
		.amdhsa_user_sgpr_dispatch_ptr 0
		.amdhsa_user_sgpr_queue_ptr 0
		.amdhsa_user_sgpr_kernarg_segment_ptr 1
		.amdhsa_user_sgpr_dispatch_id 0
		.amdhsa_user_sgpr_kernarg_preload_length 0
		.amdhsa_user_sgpr_kernarg_preload_offset 0
		.amdhsa_user_sgpr_private_segment_size 0
		.amdhsa_wavefront_size32 1
		.amdhsa_uses_dynamic_stack 0
		.amdhsa_enable_private_segment 0
		.amdhsa_system_sgpr_workgroup_id_x 1
		.amdhsa_system_sgpr_workgroup_id_y 0
		.amdhsa_system_sgpr_workgroup_id_z 0
		.amdhsa_system_sgpr_workgroup_info 0
		.amdhsa_system_vgpr_workitem_id 0
		.amdhsa_next_free_vgpr 40
		.amdhsa_next_free_sgpr 7
		.amdhsa_named_barrier_count 0
		.amdhsa_reserve_vcc 0
		.amdhsa_float_round_mode_32 0
		.amdhsa_float_round_mode_16_64 0
		.amdhsa_float_denorm_mode_32 3
		.amdhsa_float_denorm_mode_16_64 3
		.amdhsa_fp16_overflow 0
		.amdhsa_memory_ordered 1
		.amdhsa_forward_progress 1
		.amdhsa_inst_pref_size 4
		.amdhsa_round_robin_scheduling 0
		.amdhsa_exception_fp_ieee_invalid_op 0
		.amdhsa_exception_fp_denorm_src 0
		.amdhsa_exception_fp_ieee_div_zero 0
		.amdhsa_exception_fp_ieee_overflow 0
		.amdhsa_exception_fp_ieee_underflow 0
		.amdhsa_exception_fp_ieee_inexact 0
		.amdhsa_exception_int_div_zero 0
	.end_amdhsa_kernel
	.section	.text._Z9AoSKernelILi4096EEvPK9AppleTreePi,"axG",@progbits,_Z9AoSKernelILi4096EEvPK9AppleTreePi,comdat
.Lfunc_end0:
	.size	_Z9AoSKernelILi4096EEvPK9AppleTreePi, .Lfunc_end0-_Z9AoSKernelILi4096EEvPK9AppleTreePi
                                        ; -- End function
	.set _Z9AoSKernelILi4096EEvPK9AppleTreePi.num_vgpr, 40
	.set _Z9AoSKernelILi4096EEvPK9AppleTreePi.num_agpr, 0
	.set _Z9AoSKernelILi4096EEvPK9AppleTreePi.numbered_sgpr, 7
	.set _Z9AoSKernelILi4096EEvPK9AppleTreePi.num_named_barrier, 0
	.set _Z9AoSKernelILi4096EEvPK9AppleTreePi.private_seg_size, 0
	.set _Z9AoSKernelILi4096EEvPK9AppleTreePi.uses_vcc, 0
	.set _Z9AoSKernelILi4096EEvPK9AppleTreePi.uses_flat_scratch, 0
	.set _Z9AoSKernelILi4096EEvPK9AppleTreePi.has_dyn_sized_stack, 0
	.set _Z9AoSKernelILi4096EEvPK9AppleTreePi.has_recursion, 0
	.set _Z9AoSKernelILi4096EEvPK9AppleTreePi.has_indirect_call, 0
	.section	.AMDGPU.csdata,"",@progbits
; Kernel info:
; codeLenInByte = 460
; TotalNumSgprs: 7
; NumVgprs: 40
; ScratchSize: 0
; MemoryBound: 1
; FloatMode: 240
; IeeeMode: 1
; LDSByteSize: 0 bytes/workgroup (compile time only)
; SGPRBlocks: 0
; VGPRBlocks: 2
; NumSGPRsForWavesPerEU: 7
; NumVGPRsForWavesPerEU: 40
; NamedBarCnt: 0
; Occupancy: 16
; WaveLimiterHint : 0
; COMPUTE_PGM_RSRC2:SCRATCH_EN: 0
; COMPUTE_PGM_RSRC2:USER_SGPR: 2
; COMPUTE_PGM_RSRC2:TRAP_HANDLER: 0
; COMPUTE_PGM_RSRC2:TGID_X_EN: 1
; COMPUTE_PGM_RSRC2:TGID_Y_EN: 0
; COMPUTE_PGM_RSRC2:TGID_Z_EN: 0
; COMPUTE_PGM_RSRC2:TIDIG_COMP_CNT: 0
	.section	.text._Z9SoAKernelILi4096EEvPK13ApplesOnTreesPi,"axG",@progbits,_Z9SoAKernelILi4096EEvPK13ApplesOnTreesPi,comdat
	.protected	_Z9SoAKernelILi4096EEvPK13ApplesOnTreesPi ; -- Begin function _Z9SoAKernelILi4096EEvPK13ApplesOnTreesPi
	.globl	_Z9SoAKernelILi4096EEvPK13ApplesOnTreesPi
	.p2align	8
	.type	_Z9SoAKernelILi4096EEvPK13ApplesOnTreesPi,@function
_Z9SoAKernelILi4096EEvPK13ApplesOnTreesPi: ; @_Z9SoAKernelILi4096EEvPK13ApplesOnTreesPi
; %bb.0:
	s_load_b32 s4, s[0:1], 0x1c
	s_bfe_u32 s5, ttmp6, 0x4000c
	s_wait_xcnt 0x0
	s_load_b128 s[0:3], s[0:1], 0x0
	s_add_co_i32 s5, s5, 1
	s_and_b32 s6, ttmp6, 15
	s_mul_i32 s5, ttmp9, s5
	s_getreg_b32 s7, hwreg(HW_REG_IB_STS2, 6, 4)
	s_add_co_i32 s6, s6, s5
	v_mov_b32_e32 v1, 0
	s_delay_alu instid0(VALU_DEP_1)
	v_dual_mov_b32 v4, v1 :: v_dual_mov_b32 v5, v1
	s_wait_kmcnt 0x0
	s_and_b32 s4, s4, 0xffff
	s_cmp_eq_u32 s7, 0
	s_cselect_b32 s5, ttmp9, s6
	s_movk_i32 s6, 0x1000
	v_mad_u32 v0, s5, s4, v0
	s_mov_b32 s4, 1
	s_delay_alu instid0(VALU_DEP_1) | instskip(SKIP_1) | instid1(SALU_CYCLE_1)
	v_lshl_add_u64 v[2:3], v[0:1], 2, s[0:1]
	s_mov_b32 s1, 0
	s_mov_b32 s0, s1
.LBB1_1:                                ; =>This Inner Loop Header: Depth=1
	s_delay_alu instid0(SALU_CYCLE_1)
	s_lshl_b64 s[8:9], s[0:1], 14
	s_mov_b32 s5, s1
	s_add_co_i32 s10, s4, 2
	s_mov_b32 s11, s1
	s_add_co_i32 s12, s0, 2
	s_mov_b32 s13, s1
	v_add_nc_u64_e32 v[6:7], s[8:9], v[2:3]
	s_lshl_b64 s[8:9], s[4:5], 14
	s_lshl_b64 s[10:11], s[10:11], 14
	s_add_co_i32 s16, s0, 4
	s_mov_b32 s17, s1
	s_lshl_b64 s[12:13], s[12:13], 14
	v_add_nc_u64_e32 v[8:9], s[8:9], v[2:3]
	s_add_co_i32 s14, s4, 4
	s_mov_b32 s15, s1
	v_add_nc_u64_e32 v[12:13], s[10:11], v[2:3]
	s_add_co_i32 s18, s4, 6
	s_mov_b32 s19, s1
	s_lshl_b64 s[16:17], s[16:17], 14
	v_add_nc_u64_e32 v[10:11], s[12:13], v[2:3]
	s_add_co_i32 s20, s0, 6
	s_mov_b32 s21, s1
	s_lshl_b64 s[14:15], s[14:15], 14
	s_lshl_b64 s[18:19], s[18:19], 14
	v_add_nc_u64_e32 v[14:15], s[16:17], v[2:3]
	s_lshl_b64 s[20:21], s[20:21], 14
	v_add_nc_u64_e32 v[16:17], s[14:15], v[2:3]
	v_add_nc_u64_e32 v[20:21], s[18:19], v[2:3]
	s_clause 0x3
	global_load_b32 v34, v[6:7], off
	global_load_b32 v35, v[8:9], off
	global_load_b32 v36, v[12:13], off
	global_load_b32 v37, v[10:11], off
	v_add_nc_u64_e32 v[18:19], s[20:21], v[2:3]
	s_add_co_i32 s24, s0, 8
	s_mov_b32 s25, s1
	s_add_co_i32 s22, s4, 8
	s_mov_b32 s23, s1
	s_add_co_i32 s26, s4, 10
	s_mov_b32 s27, s1
	s_lshl_b64 s[24:25], s[24:25], 14
	s_clause 0x3
	global_load_b32 v10, v[14:15], off
	global_load_b32 v11, v[16:17], off
	global_load_b32 v12, v[20:21], off
	global_load_b32 v13, v[18:19], off
	s_add_co_i32 s28, s0, 10
	s_mov_b32 s29, s1
	s_lshl_b64 s[22:23], s[22:23], 14
	s_add_co_i32 s34, s0, 12
	s_mov_b32 s35, s1
	s_lshl_b64 s[26:27], s[26:27], 14
	v_add_nc_u64_e32 v[22:23], s[24:25], v[2:3]
	s_add_co_i32 s30, s4, 12
	s_mov_b32 s31, s1
	s_lshl_b64 s[28:29], s[28:29], 14
	v_add_nc_u64_e32 v[24:25], s[22:23], v[2:3]
	;; [unrolled: 4-line block ×4, first 2 shown]
	s_lshl_b64 s[36:37], s[36:37], 14
	v_add_nc_u64_e32 v[30:31], s[34:35], v[2:3]
	s_lshl_b64 s[38:39], s[38:39], 14
	v_add_nc_u64_e32 v[32:33], s[30:31], v[2:3]
	v_add_nc_u64_e32 v[8:9], s[36:37], v[2:3]
	;; [unrolled: 1-line block ×3, first 2 shown]
	s_clause 0x7
	global_load_b32 v14, v[22:23], off
	global_load_b32 v15, v[24:25], off
	;; [unrolled: 1-line block ×8, first 2 shown]
	s_add_co_i32 s6, s6, -16
	s_add_co_i32 s0, s0, 16
	s_add_co_i32 s4, s4, 16
	s_cmp_lg_u32 s6, 0
	s_wait_loadcnt 0xd
	v_add3_u32 v5, v35, v5, v36
	s_wait_loadcnt 0xc
	v_add3_u32 v4, v34, v4, v37
	s_wait_loadcnt 0x9
	s_delay_alu instid0(VALU_DEP_2) | instskip(SKIP_1) | instid1(VALU_DEP_2)
	v_add3_u32 v5, v11, v5, v12
	s_wait_loadcnt 0x8
	v_add3_u32 v4, v10, v4, v13
	s_wait_loadcnt 0x5
	s_delay_alu instid0(VALU_DEP_2) | instskip(SKIP_1) | instid1(VALU_DEP_2)
	v_add3_u32 v5, v15, v5, v16
	s_wait_loadcnt 0x4
	v_add3_u32 v4, v14, v4, v17
	s_wait_loadcnt 0x1
	s_delay_alu instid0(VALU_DEP_2) | instskip(SKIP_1) | instid1(VALU_DEP_2)
	v_add3_u32 v5, v19, v5, v20
	s_wait_loadcnt 0x0
	v_add3_u32 v4, v18, v4, v21
	s_cbranch_scc1 .LBB1_1
; %bb.2:
	s_delay_alu instid0(VALU_DEP_1)
	v_add_nc_u32_e32 v2, v4, v5
	v_lshl_add_u64 v[0:1], v[0:1], 2, s[2:3]
	global_store_b32 v[0:1], v2, off
	s_endpgm
	.section	.rodata,"a",@progbits
	.p2align	6, 0x0
	.amdhsa_kernel _Z9SoAKernelILi4096EEvPK13ApplesOnTreesPi
		.amdhsa_group_segment_fixed_size 0
		.amdhsa_private_segment_fixed_size 0
		.amdhsa_kernarg_size 272
		.amdhsa_user_sgpr_count 2
		.amdhsa_user_sgpr_dispatch_ptr 0
		.amdhsa_user_sgpr_queue_ptr 0
		.amdhsa_user_sgpr_kernarg_segment_ptr 1
		.amdhsa_user_sgpr_dispatch_id 0
		.amdhsa_user_sgpr_kernarg_preload_length 0
		.amdhsa_user_sgpr_kernarg_preload_offset 0
		.amdhsa_user_sgpr_private_segment_size 0
		.amdhsa_wavefront_size32 1
		.amdhsa_uses_dynamic_stack 0
		.amdhsa_enable_private_segment 0
		.amdhsa_system_sgpr_workgroup_id_x 1
		.amdhsa_system_sgpr_workgroup_id_y 0
		.amdhsa_system_sgpr_workgroup_id_z 0
		.amdhsa_system_sgpr_workgroup_info 0
		.amdhsa_system_vgpr_workitem_id 0
		.amdhsa_next_free_vgpr 38
		.amdhsa_next_free_sgpr 40
		.amdhsa_named_barrier_count 0
		.amdhsa_reserve_vcc 0
		.amdhsa_float_round_mode_32 0
		.amdhsa_float_round_mode_16_64 0
		.amdhsa_float_denorm_mode_32 3
		.amdhsa_float_denorm_mode_16_64 3
		.amdhsa_fp16_overflow 0
		.amdhsa_memory_ordered 1
		.amdhsa_forward_progress 1
		.amdhsa_inst_pref_size 6
		.amdhsa_round_robin_scheduling 0
		.amdhsa_exception_fp_ieee_invalid_op 0
		.amdhsa_exception_fp_denorm_src 0
		.amdhsa_exception_fp_ieee_div_zero 0
		.amdhsa_exception_fp_ieee_overflow 0
		.amdhsa_exception_fp_ieee_underflow 0
		.amdhsa_exception_fp_ieee_inexact 0
		.amdhsa_exception_int_div_zero 0
	.end_amdhsa_kernel
	.section	.text._Z9SoAKernelILi4096EEvPK13ApplesOnTreesPi,"axG",@progbits,_Z9SoAKernelILi4096EEvPK13ApplesOnTreesPi,comdat
.Lfunc_end1:
	.size	_Z9SoAKernelILi4096EEvPK13ApplesOnTreesPi, .Lfunc_end1-_Z9SoAKernelILi4096EEvPK13ApplesOnTreesPi
                                        ; -- End function
	.set _Z9SoAKernelILi4096EEvPK13ApplesOnTreesPi.num_vgpr, 38
	.set _Z9SoAKernelILi4096EEvPK13ApplesOnTreesPi.num_agpr, 0
	.set _Z9SoAKernelILi4096EEvPK13ApplesOnTreesPi.numbered_sgpr, 40
	.set _Z9SoAKernelILi4096EEvPK13ApplesOnTreesPi.num_named_barrier, 0
	.set _Z9SoAKernelILi4096EEvPK13ApplesOnTreesPi.private_seg_size, 0
	.set _Z9SoAKernelILi4096EEvPK13ApplesOnTreesPi.uses_vcc, 0
	.set _Z9SoAKernelILi4096EEvPK13ApplesOnTreesPi.uses_flat_scratch, 0
	.set _Z9SoAKernelILi4096EEvPK13ApplesOnTreesPi.has_dyn_sized_stack, 0
	.set _Z9SoAKernelILi4096EEvPK13ApplesOnTreesPi.has_recursion, 0
	.set _Z9SoAKernelILi4096EEvPK13ApplesOnTreesPi.has_indirect_call, 0
	.section	.AMDGPU.csdata,"",@progbits
; Kernel info:
; codeLenInByte = 732
; TotalNumSgprs: 40
; NumVgprs: 38
; ScratchSize: 0
; MemoryBound: 0
; FloatMode: 240
; IeeeMode: 1
; LDSByteSize: 0 bytes/workgroup (compile time only)
; SGPRBlocks: 0
; VGPRBlocks: 2
; NumSGPRsForWavesPerEU: 40
; NumVGPRsForWavesPerEU: 38
; NamedBarCnt: 0
; Occupancy: 16
; WaveLimiterHint : 0
; COMPUTE_PGM_RSRC2:SCRATCH_EN: 0
; COMPUTE_PGM_RSRC2:USER_SGPR: 2
; COMPUTE_PGM_RSRC2:TRAP_HANDLER: 0
; COMPUTE_PGM_RSRC2:TGID_X_EN: 1
; COMPUTE_PGM_RSRC2:TGID_Y_EN: 0
; COMPUTE_PGM_RSRC2:TGID_Z_EN: 0
; COMPUTE_PGM_RSRC2:TIDIG_COMP_CNT: 0
	.section	.AMDGPU.gpr_maximums,"",@progbits
	.set amdgpu.max_num_vgpr, 0
	.set amdgpu.max_num_agpr, 0
	.set amdgpu.max_num_sgpr, 0
	.section	.AMDGPU.csdata,"",@progbits
	.type	__hip_cuid_e1fcbebefb158710,@object ; @__hip_cuid_e1fcbebefb158710
	.section	.bss,"aw",@nobits
	.globl	__hip_cuid_e1fcbebefb158710
__hip_cuid_e1fcbebefb158710:
	.byte	0                               ; 0x0
	.size	__hip_cuid_e1fcbebefb158710, 1

	.ident	"AMD clang version 22.0.0git (https://github.com/RadeonOpenCompute/llvm-project roc-7.2.4 26084 f58b06dce1f9c15707c5f808fd002e18c2accf7e)"
	.section	".note.GNU-stack","",@progbits
	.addrsig
	.addrsig_sym __hip_cuid_e1fcbebefb158710
	.amdgpu_metadata
---
amdhsa.kernels:
  - .args:
      - .actual_access:  read_only
        .address_space:  global
        .offset:         0
        .size:           8
        .value_kind:     global_buffer
      - .actual_access:  write_only
        .address_space:  global
        .offset:         8
        .size:           8
        .value_kind:     global_buffer
      - .offset:         16
        .size:           4
        .value_kind:     hidden_block_count_x
      - .offset:         20
        .size:           4
        .value_kind:     hidden_block_count_y
      - .offset:         24
        .size:           4
        .value_kind:     hidden_block_count_z
      - .offset:         28
        .size:           2
        .value_kind:     hidden_group_size_x
      - .offset:         30
        .size:           2
        .value_kind:     hidden_group_size_y
      - .offset:         32
        .size:           2
        .value_kind:     hidden_group_size_z
      - .offset:         34
        .size:           2
        .value_kind:     hidden_remainder_x
      - .offset:         36
        .size:           2
        .value_kind:     hidden_remainder_y
      - .offset:         38
        .size:           2
        .value_kind:     hidden_remainder_z
      - .offset:         56
        .size:           8
        .value_kind:     hidden_global_offset_x
      - .offset:         64
        .size:           8
        .value_kind:     hidden_global_offset_y
      - .offset:         72
        .size:           8
        .value_kind:     hidden_global_offset_z
      - .offset:         80
        .size:           2
        .value_kind:     hidden_grid_dims
    .group_segment_fixed_size: 0
    .kernarg_segment_align: 8
    .kernarg_segment_size: 272
    .language:       OpenCL C
    .language_version:
      - 2
      - 0
    .max_flat_workgroup_size: 1024
    .name:           _Z9AoSKernelILi4096EEvPK9AppleTreePi
    .private_segment_fixed_size: 0
    .sgpr_count:     7
    .sgpr_spill_count: 0
    .symbol:         _Z9AoSKernelILi4096EEvPK9AppleTreePi.kd
    .uniform_work_group_size: 1
    .uses_dynamic_stack: false
    .vgpr_count:     40
    .vgpr_spill_count: 0
    .wavefront_size: 32
  - .args:
      - .actual_access:  read_only
        .address_space:  global
        .offset:         0
        .size:           8
        .value_kind:     global_buffer
      - .actual_access:  write_only
        .address_space:  global
        .offset:         8
        .size:           8
        .value_kind:     global_buffer
      - .offset:         16
        .size:           4
        .value_kind:     hidden_block_count_x
      - .offset:         20
        .size:           4
        .value_kind:     hidden_block_count_y
      - .offset:         24
        .size:           4
        .value_kind:     hidden_block_count_z
      - .offset:         28
        .size:           2
        .value_kind:     hidden_group_size_x
      - .offset:         30
        .size:           2
        .value_kind:     hidden_group_size_y
      - .offset:         32
        .size:           2
        .value_kind:     hidden_group_size_z
      - .offset:         34
        .size:           2
        .value_kind:     hidden_remainder_x
      - .offset:         36
        .size:           2
        .value_kind:     hidden_remainder_y
      - .offset:         38
        .size:           2
        .value_kind:     hidden_remainder_z
      - .offset:         56
        .size:           8
        .value_kind:     hidden_global_offset_x
      - .offset:         64
        .size:           8
        .value_kind:     hidden_global_offset_y
      - .offset:         72
        .size:           8
        .value_kind:     hidden_global_offset_z
      - .offset:         80
        .size:           2
        .value_kind:     hidden_grid_dims
    .group_segment_fixed_size: 0
    .kernarg_segment_align: 8
    .kernarg_segment_size: 272
    .language:       OpenCL C
    .language_version:
      - 2
      - 0
    .max_flat_workgroup_size: 1024
    .name:           _Z9SoAKernelILi4096EEvPK13ApplesOnTreesPi
    .private_segment_fixed_size: 0
    .sgpr_count:     40
    .sgpr_spill_count: 0
    .symbol:         _Z9SoAKernelILi4096EEvPK13ApplesOnTreesPi.kd
    .uniform_work_group_size: 1
    .uses_dynamic_stack: false
    .vgpr_count:     38
    .vgpr_spill_count: 0
    .wavefront_size: 32
amdhsa.target:   amdgcn-amd-amdhsa--gfx1250
amdhsa.version:
  - 1
  - 2
...

	.end_amdgpu_metadata
